;; amdgpu-corpus repo=ROCm/rocFFT kind=compiled arch=gfx950 opt=O3
	.text
	.amdgcn_target "amdgcn-amd-amdhsa--gfx950"
	.amdhsa_code_object_version 6
	.protected	fft_rtc_fwd_len192_factors_3_4_4_4_wgs_256_tpt_16_halfLds_dim3_sp_ip_CI_unitstride_sbrr_dirReg ; -- Begin function fft_rtc_fwd_len192_factors_3_4_4_4_wgs_256_tpt_16_halfLds_dim3_sp_ip_CI_unitstride_sbrr_dirReg
	.globl	fft_rtc_fwd_len192_factors_3_4_4_4_wgs_256_tpt_16_halfLds_dim3_sp_ip_CI_unitstride_sbrr_dirReg
	.p2align	8
	.type	fft_rtc_fwd_len192_factors_3_4_4_4_wgs_256_tpt_16_halfLds_dim3_sp_ip_CI_unitstride_sbrr_dirReg,@function
fft_rtc_fwd_len192_factors_3_4_4_4_wgs_256_tpt_16_halfLds_dim3_sp_ip_CI_unitstride_sbrr_dirReg: ; @fft_rtc_fwd_len192_factors_3_4_4_4_wgs_256_tpt_16_halfLds_dim3_sp_ip_CI_unitstride_sbrr_dirReg
; %bb.0:
	s_load_dwordx4 s[4:7], s[0:1], 0x8
	v_lshrrev_b32_e32 v17, 4, v0
	v_mov_b32_e32 v5, 0
	v_mov_b64_e32 v[2:3], 0
	v_lshl_or_b32 v4, s2, 4, v17
	s_waitcnt lgkmcnt(0)
	s_load_dwordx2 s[8:9], s[4:5], 0x8
	v_mov_b64_e32 v[6:7], v[2:3]
	s_waitcnt lgkmcnt(0)
	v_cmp_le_u64_e32 vcc, s[8:9], v[4:5]
	s_and_saveexec_b64 s[2:3], vcc
	s_cbranch_execz .LBB0_2
; %bb.1:
	v_cvt_f32_u32_e32 v1, s8
	s_sub_i32 s10, 0, s8
	v_rcp_iflag_f32_e32 v1, v1
	s_nop 0
	v_mul_f32_e32 v1, 0x4f7ffffe, v1
	v_cvt_u32_f32_e32 v1, v1
	v_mul_lo_u32 v6, s10, v1
	v_mul_hi_u32 v6, v1, v6
	v_add_u32_e32 v1, v1, v6
	v_mul_hi_u32 v1, v4, v1
	v_mul_lo_u32 v6, v1, s8
	v_sub_u32_e32 v6, v4, v6
	v_add_u32_e32 v7, 1, v1
	v_subrev_u32_e32 v8, s8, v6
	v_cmp_le_u32_e32 vcc, s8, v6
	s_nop 1
	v_cndmask_b32_e32 v6, v6, v8, vcc
	v_cndmask_b32_e32 v1, v1, v7, vcc
	v_add_u32_e32 v7, 1, v1
	v_cmp_le_u32_e32 vcc, s8, v6
	s_nop 1
	v_cndmask_b32_e32 v6, v1, v7, vcc
	v_mov_b32_e32 v7, v5
.LBB0_2:
	s_or_b64 exec, exec, s[2:3]
	s_load_dwordx2 s[10:11], s[4:5], 0x10
	s_load_dwordx2 s[12:13], s[6:7], 0x8
	s_waitcnt lgkmcnt(0)
	v_cmp_le_u64_e32 vcc, s[10:11], v[6:7]
	s_and_saveexec_b64 s[2:3], vcc
	s_cbranch_execz .LBB0_4
; %bb.3:
	v_cvt_f32_u32_e32 v1, s10
	s_sub_i32 s4, 0, s10
	v_rcp_iflag_f32_e32 v1, v1
	s_nop 0
	v_mul_f32_e32 v1, 0x4f7ffffe, v1
	v_cvt_u32_f32_e32 v1, v1
	v_mul_lo_u32 v2, s4, v1
	v_mul_hi_u32 v2, v1, v2
	v_add_u32_e32 v1, v1, v2
	v_mul_hi_u32 v1, v6, v1
	v_mul_lo_u32 v2, v1, s10
	v_sub_u32_e32 v2, v6, v2
	v_add_u32_e32 v3, 1, v1
	v_subrev_u32_e32 v5, s10, v2
	v_cmp_le_u32_e32 vcc, s10, v2
	s_nop 1
	v_cndmask_b32_e32 v2, v2, v5, vcc
	v_cndmask_b32_e32 v1, v1, v3, vcc
	v_add_u32_e32 v3, 1, v1
	v_cmp_le_u32_e32 vcc, s10, v2
	s_nop 1
	v_cndmask_b32_e32 v2, v1, v3, vcc
	v_mov_b32_e32 v3, 0
.LBB0_4:
	s_or_b64 exec, exec, s[2:3]
	v_mad_u64_u32 v[8:9], s[4:5], v6, s8, 0
	v_mov_b32_e32 v10, v9
	v_mad_u64_u32 v[10:11], s[4:5], v6, s9, v[10:11]
	v_mov_b32_e32 v1, v10
	v_sub_co_u32_e32 v4, vcc, v4, v8
	v_mul_lo_u32 v8, s13, v4
	s_nop 0
	v_subb_co_u32_e32 v1, vcc, 0, v1, vcc
	v_mul_lo_u32 v1, s12, v1
	v_mad_u64_u32 v[4:5], s[4:5], s12, v4, 0
	s_load_dwordx2 s[2:3], s[0:1], 0x0
	v_add3_u32 v5, v5, v1, v8
	s_load_dwordx2 s[4:5], s[0:1], 0x48
	s_load_dwordx2 s[12:13], s[0:1], 0x18
	v_mad_u64_u32 v[8:9], s[0:1], v2, s10, 0
	v_mov_b32_e32 v10, v9
	v_mad_u64_u32 v[10:11], s[0:1], v2, s11, v[10:11]
	s_load_dwordx4 s[8:11], s[6:7], 0x10
	v_mov_b32_e32 v1, v10
	v_sub_co_u32_e32 v6, vcc, v6, v8
	v_and_b32_e32 v36, 15, v0
	s_nop 0
	v_subb_co_u32_e32 v1, vcc, v7, v1, vcc
	s_waitcnt lgkmcnt(0)
	v_mad_u64_u32 v[4:5], s[0:1], s8, v6, v[4:5]
	v_mul_lo_u32 v1, s8, v1
	v_mul_lo_u32 v6, s9, v6
	v_add3_u32 v5, v6, v5, v1
	v_mad_u64_u32 v[4:5], s[0:1], s10, v2, v[4:5]
	v_mov_b32_e32 v6, v5
	v_mad_u64_u32 v[6:7], s[0:1], s11, v2, v[6:7]
	v_cmp_gt_u64_e32 vcc, s[12:13], v[2:3]
	v_cmp_le_u64_e64 s[0:1], s[12:13], v[2:3]
	v_or_b32_e32 v25, 16, v36
	v_or_b32_e32 v27, 32, v36
	;; [unrolled: 1-line block ×3, first 2 shown]
	s_and_saveexec_b64 s[6:7], s[0:1]
	s_xor_b64 s[0:1], exec, s[6:7]
; %bb.5:
	v_or_b32_e32 v25, 16, v36
	v_or_b32_e32 v27, 32, v36
	;; [unrolled: 1-line block ×3, first 2 shown]
; %bb.6:
	s_or_saveexec_b64 s[0:1], s[0:1]
	v_mov_b32_e32 v5, v6
	v_lshl_add_u64 v[0:1], v[4:5], 3, s[4:5]
	v_lshlrev_b32_e32 v2, 3, v36
                                        ; implicit-def: $vgpr34
                                        ; implicit-def: $vgpr24
                                        ; implicit-def: $vgpr22
                                        ; implicit-def: $vgpr20
                                        ; implicit-def: $vgpr14
                                        ; implicit-def: $vgpr12
                                        ; implicit-def: $vgpr30
                                        ; implicit-def: $vgpr18
                                        ; implicit-def: $vgpr8
                                        ; implicit-def: $vgpr28
                                        ; implicit-def: $vgpr16
                                        ; implicit-def: $vgpr4
                                        ; implicit-def: $vgpr6
                                        ; implicit-def: $vgpr10
                                        ; implicit-def: $vgpr32
                                        ; implicit-def: $vgpr26
	s_xor_b64 exec, exec, s[0:1]
	s_cbranch_execz .LBB0_8
; %bb.7:
	v_mov_b32_e32 v3, 0
	v_lshl_add_u64 v[38:39], v[0:1], 0, v[2:3]
	global_load_dwordx2 v[34:35], v[38:39], off
	global_load_dwordx2 v[32:33], v[38:39], off offset:128
	global_load_dwordx2 v[30:31], v[38:39], off offset:256
	;; [unrolled: 1-line block ×11, first 2 shown]
	s_waitcnt vmcnt(11)
	v_mov_b32_e32 v24, v35
	s_waitcnt vmcnt(10)
	v_mov_b32_e32 v26, v33
	;; [unrolled: 2-line block ×4, first 2 shown]
.LBB0_8:
	s_or_b64 exec, exec, s[0:1]
	s_waitcnt vmcnt(3)
	v_pk_add_f32 v[38:39], v[22:23], v[20:21]
	s_waitcnt vmcnt(2)
	v_pk_add_f32 v[48:49], v[14:15], v[12:13]
	v_mul_f32_e32 v41, 0.5, v38
	v_mul_f32_e32 v51, 0.5, v48
	v_mov_b32_e32 v40, v22
	v_mov_b32_e32 v50, v14
	v_mul_u32_u24_e32 v3, 0xc0, v17
	v_pk_add_f32 v[42:43], v[22:23], v[20:21] neg_lo:[0,1] neg_hi:[0,1]
	v_pk_add_f32 v[52:53], v[14:15], v[12:13] neg_lo:[0,1] neg_hi:[0,1]
	v_pk_add_f32 v[40:41], v[34:35], v[40:41] op_sel_hi:[0,1] neg_lo:[0,1] neg_hi:[0,1]
	v_pk_add_f32 v[34:35], v[34:35], v[22:23]
	v_pk_add_f32 v[50:51], v[32:33], v[50:51] op_sel_hi:[0,1] neg_lo:[0,1] neg_hi:[0,1]
	v_pk_add_f32 v[32:33], v[32:33], v[14:15]
	v_mul_f32_e32 v45, 0x3f5db3d7, v43
	v_mul_f32_e32 v55, 0x3f5db3d7, v53
	s_waitcnt vmcnt(1)
	v_pk_add_f32 v[56:57], v[8:9], v[10:11]
	v_mov_b32_e32 v35, v41
	v_mov_b32_e32 v44, v20
	v_lshl_add_u32 v17, v3, 2, 0
	v_mov_b32_e32 v33, v51
	v_mov_b32_e32 v54, v12
	v_pk_add_f32 v[34:35], v[34:35], v[44:45]
	v_mul_f32_e32 v45, 0.5, v56
	v_mad_u32_u24 v37, v36, 12, v17
	v_fmac_f32_e32 v41, 0xbf5db3d7, v43
	v_pk_add_f32 v[32:33], v[54:55], v[32:33]
	v_mad_i32_i24 v48, v25, 12, v17
	v_mov_b32_e32 v44, v10
	ds_write2_b32 v37, v34, v35 offset1:1
	v_pk_add_f32 v[34:35], v[10:11], v[8:9] neg_lo:[0,1] neg_hi:[0,1]
	ds_write_b32 v37, v41 offset:8
	ds_write2_b32 v48, v32, v33 offset1:1
	s_waitcnt vmcnt(0)
	v_pk_add_f32 v[32:33], v[4:5], v[6:7]
	v_fmac_f32_e32 v51, 0xbf5db3d7, v53
	v_pk_add_f32 v[44:45], v[30:31], v[44:45] op_sel_hi:[0,1] neg_lo:[0,1] neg_hi:[0,1]
	v_pk_add_f32 v[30:31], v[30:31], v[10:11]
	v_mul_f32_e32 v41, 0x3f5db3d7, v35
	ds_write_b32 v48, v51 offset:8
	v_mul_f32_e32 v51, 0.5, v32
	v_mov_b32_e32 v31, v45
	v_mov_b32_e32 v40, v8
	v_mad_i32_i24 v32, v27, 12, v17
	v_fmac_f32_e32 v45, 0xbf5db3d7, v35
	v_mov_b32_e32 v50, v4
	v_pk_add_f32 v[30:31], v[40:41], v[30:31]
	v_pk_add_f32 v[40:41], v[4:5], v[6:7] neg_lo:[0,1] neg_hi:[0,1]
	ds_write_b32 v32, v45 offset:8
	v_pk_add_f32 v[44:45], v[28:29], v[50:51] op_sel_hi:[0,1] neg_lo:[0,1] neg_hi:[0,1]
	v_pk_add_f32 v[28:29], v[28:29], v[4:5]
	ds_write2_b32 v32, v30, v31 offset1:1
	v_mul_f32_e32 v31, 0x3f5db3d7, v41
	v_mad_i32_i24 v53, v19, 12, v17
	v_mov_b32_e32 v29, v45
	v_mov_b32_e32 v30, v6
	v_lshlrev_b32_e32 v4, 3, v19
	v_pk_add_f32 v[28:29], v[28:29], v[30:31]
	v_sub_u32_e32 v22, v53, v4
	v_lshlrev_b32_e32 v4, 3, v25
	v_fmac_f32_e32 v45, 0xbf5db3d7, v41
	ds_write2_b32 v53, v28, v29 offset1:1
	ds_write_b32 v53, v45 offset:8
	v_sub_u32_e32 v29, v48, v4
	v_mov_b32_e32 v4, v23
	v_mul_f32_e32 v39, 0.5, v39
	v_mov_b32_e32 v38, v23
	v_pk_add_f32 v[50:51], v[24:25], v[4:5] op_sel_hi:[0,1]
	v_lshlrev_b32_e32 v4, 3, v27
	v_mul_f32_e32 v47, 0x3f5db3d7, v42
	v_pk_add_f32 v[38:39], v[24:25], v[38:39] op_sel_hi:[0,1] neg_lo:[0,1] neg_hi:[0,1]
	v_sub_u32_e32 v23, v32, v4
	v_mov_b32_e32 v46, v21
	v_mov_b32_e32 v4, v21
	v_lshl_add_u32 v3, v36, 2, v17
	v_sub_u32_e32 v28, v37, v2
	v_pk_add_f32 v[20:21], v[50:51], v[4:5] op_sel_hi:[1,0]
	v_pk_add_f32 v[46:47], v[38:39], v[46:47] neg_lo:[0,1] neg_hi:[0,1]
	s_waitcnt lgkmcnt(0)
	s_barrier
	ds_read2_b32 v[30:31], v28 offset0:96 offset1:112
	ds_read2_b32 v[44:45], v28 offset0:128 offset1:144
	ds_read_b32 v24, v3
	ds_read_b32 v41, v22
	;; [unrolled: 1-line block ×4, first 2 shown]
	ds_read2_b32 v[50:51], v28 offset0:64 offset1:80
	ds_read2_b32 v[54:55], v28 offset0:160 offset1:176
	s_waitcnt lgkmcnt(0)
	s_barrier
	ds_write2_b32 v37, v20, v47 offset1:1
	v_fmac_f32_e32 v39, 0x3f5db3d7, v42
	v_mul_f32_e32 v21, 0.5, v49
	v_mov_b32_e32 v20, v15
	v_mov_b32_e32 v4, v15
	ds_write_b32 v37, v39 offset:8
	v_mul_f32_e32 v39, 0x3f5db3d7, v52
	v_pk_add_f32 v[14:15], v[26:27], v[4:5] op_sel_hi:[0,1]
	v_pk_add_f32 v[20:21], v[26:27], v[20:21] op_sel_hi:[0,1] neg_lo:[0,1] neg_hi:[0,1]
	v_mov_b32_e32 v38, v13
	v_mov_b32_e32 v4, v13
	v_mul_f32_e32 v43, 0.5, v57
	v_mul_f32_e32 v19, 0x3f5db3d7, v34
	v_pk_add_f32 v[12:13], v[14:15], v[4:5] op_sel_hi:[1,0]
	v_pk_add_f32 v[14:15], v[20:21], v[38:39] neg_lo:[0,1] neg_hi:[0,1]
	v_mov_b32_e32 v4, v11
	v_mov_b32_e32 v42, v11
	v_fmac_f32_e32 v21, 0x3f5db3d7, v52
	ds_write2_b32 v48, v12, v15 offset1:1
	ds_write_b32 v48, v21 offset:8
	v_pk_add_f32 v[10:11], v[18:19], v[4:5] op_sel_hi:[0,1]
	v_pk_add_f32 v[12:13], v[18:19], v[42:43] op_sel_hi:[0,1] neg_lo:[0,1] neg_hi:[0,1]
	v_mov_b32_e32 v4, v9
	v_mov_b32_e32 v18, v9
	v_pk_add_f32 v[8:9], v[10:11], v[4:5] op_sel_hi:[1,0]
	v_pk_add_f32 v[10:11], v[12:13], v[18:19] neg_lo:[0,1] neg_hi:[0,1]
	v_mul_f32_e32 v33, 0.5, v33
	v_fmac_f32_e32 v13, 0x3f5db3d7, v34
	ds_write2_b32 v32, v8, v11 offset1:1
	ds_write_b32 v32, v13 offset:8
	v_mov_b32_e32 v4, v5
	v_mov_b32_e32 v32, v5
	v_mul_f32_e32 v35, 0x3f5db3d7, v40
	v_pk_add_f32 v[4:5], v[16:17], v[4:5] op_sel_hi:[0,1]
	v_pk_add_f32 v[8:9], v[16:17], v[32:33] op_sel_hi:[0,1] neg_lo:[0,1] neg_hi:[0,1]
	v_mov_b32_e32 v6, v7
	v_mov_b32_e32 v34, v7
	v_pk_add_f32 v[4:5], v[4:5], v[6:7] op_sel_hi:[1,0]
	v_pk_add_f32 v[6:7], v[8:9], v[34:35] neg_lo:[0,1] neg_hi:[0,1]
	v_mul_lo_u16_e32 v16, 0x56, v36
	v_mov_b32_e32 v26, 3
	v_fmac_f32_e32 v9, 0x3f5db3d7, v40
	ds_write2_b32 v53, v4, v7 offset1:1
	ds_write_b32 v53, v9 offset:8
	v_mul_lo_u16_sdwa v4, v16, v26 dst_sel:DWORD dst_unused:UNUSED_PAD src0_sel:BYTE_1 src1_sel:DWORD
	v_sub_u16_e32 v37, v36, v4
	v_mul_lo_u16_e32 v4, 3, v37
	s_movk_i32 s0, 0xab
	v_lshlrev_b32_sdwa v8, v26, v4 dst_sel:DWORD dst_unused:UNUSED_PAD src0_sel:DWORD src1_sel:BYTE_0
	v_mul_lo_u16_sdwa v40, v25, s0 dst_sel:DWORD dst_unused:UNUSED_PAD src0_sel:BYTE_0 src1_sel:DWORD
	s_waitcnt lgkmcnt(0)
	s_barrier
	global_load_dwordx4 v[4:7], v8, s[2:3]
	global_load_dwordx2 v[18:19], v8, s[2:3] offset:16
	v_lshrrev_b16_e32 v42, 9, v40
	v_mul_lo_u16_e32 v8, 3, v42
	v_sub_u16_e32 v43, v25, v8
	v_mul_lo_u16_e32 v8, 3, v43
	v_lshlrev_b32_sdwa v12, v26, v8 dst_sel:DWORD dst_unused:UNUSED_PAD src0_sel:DWORD src1_sel:BYTE_0
	global_load_dwordx4 v[8:11], v12, s[2:3]
	global_load_dwordx2 v[20:21], v12, s[2:3] offset:16
	v_mul_lo_u16_sdwa v46, v27, s0 dst_sel:DWORD dst_unused:UNUSED_PAD src0_sel:BYTE_0 src1_sel:DWORD
	v_lshrrev_b16_e32 v47, 9, v46
	v_mul_lo_u16_e32 v12, 3, v47
	v_sub_u16_e32 v48, v27, v12
	v_mul_lo_u16_e32 v12, 3, v48
	v_lshlrev_b32_sdwa v34, v26, v12 dst_sel:DWORD dst_unused:UNUSED_PAD src0_sel:DWORD src1_sel:BYTE_0
	global_load_dwordx4 v[12:15], v34, s[2:3]
	global_load_dwordx2 v[32:33], v34, s[2:3] offset:16
	ds_read_b32 v49, v3
	ds_read_b32 v52, v22
	ds_read2_b32 v[34:35], v28 offset0:96 offset1:112
	ds_read2_b32 v[38:39], v28 offset0:128 offset1:144
	ds_read_b32 v53, v29
	ds_read_b32 v57, v23
	v_cmp_gt_u32_e64 s[0:1], 12, v36
	s_waitcnt vmcnt(5) lgkmcnt(4)
	v_mul_f32_e32 v59, v52, v5
	v_fma_f32 v59, v41, v4, -v59
	v_mul_f32_e32 v41, v41, v5
	v_fmac_f32_e32 v41, v52, v4
	s_waitcnt lgkmcnt(3)
	v_mul_f32_e32 v4, v34, v7
	v_fma_f32 v52, v30, v6, -v4
	v_mul_f32_e32 v30, v30, v7
	v_fmac_f32_e32 v30, v34, v6
	ds_read2_b32 v[4:5], v28 offset0:64 offset1:80
	s_waitcnt vmcnt(4) lgkmcnt(3)
	v_mul_f32_e32 v6, v39, v19
	v_fma_f32 v34, v45, v18, -v6
	v_mul_f32_e32 v19, v45, v19
	s_waitcnt vmcnt(3)
	v_mul_f32_e32 v6, v35, v11
	v_fmac_f32_e32 v19, v39, v18
	v_fma_f32 v18, v31, v10, -v6
	ds_read2_b32 v[6:7], v28 offset0:160 offset1:176
	v_mul_f32_e32 v11, v31, v11
	v_fmac_f32_e32 v11, v35, v10
	s_waitcnt lgkmcnt(1)
	v_mul_f32_e32 v10, v4, v9
	v_mul_f32_e32 v9, v50, v9
	v_fma_f32 v10, v50, v8, -v10
	v_fmac_f32_e32 v9, v4, v8
	s_waitcnt vmcnt(2)
	v_mul_f32_e32 v8, v54, v21
	s_waitcnt lgkmcnt(0)
	v_mul_f32_e32 v4, v6, v21
	v_fmac_f32_e32 v8, v6, v20
	s_waitcnt vmcnt(1)
	v_mul_f32_e32 v6, v5, v13
	v_mul_f32_e32 v13, v51, v13
	v_fma_f32 v6, v51, v12, -v6
	v_fmac_f32_e32 v13, v5, v12
	v_mul_f32_e32 v5, v38, v15
	v_mul_f32_e32 v12, v44, v15
	v_fma_f32 v5, v44, v14, -v5
	v_fmac_f32_e32 v12, v38, v14
	s_waitcnt vmcnt(0)
	v_mul_f32_e32 v14, v7, v33
	v_fma_f32 v14, v55, v32, -v14
	v_sub_f32_e32 v12, v57, v12
	v_sub_f32_e32 v14, v6, v14
	v_mul_f32_e32 v15, v55, v33
	v_fma_f32 v6, v6, 2.0, -v14
	v_add_f32_e32 v45, v12, v14
	v_mov_b32_e32 v14, 12
	v_fma_f32 v4, v54, v20, -v4
	v_fmac_f32_e32 v15, v7, v32
	v_sub_f32_e32 v7, v24, v52
	v_sub_f32_e32 v20, v49, v30
	;; [unrolled: 1-line block ×3, first 2 shown]
	v_mul_lo_u16_sdwa v14, v16, v14 dst_sel:DWORD dst_unused:UNUSED_PAD src0_sel:BYTE_1 src1_sel:DWORD
	v_fma_f32 v21, v24, 2.0, -v7
	v_sub_f32_e32 v19, v41, v19
	v_fma_f32 v31, v59, 2.0, -v30
	v_or_b32_e32 v14, v14, v37
	v_fma_f32 v32, v41, 2.0, -v19
	v_sub_f32_e32 v31, v21, v31
	v_sub_f32_e32 v19, v7, v19
	v_and_b32_e32 v14, 0xff, v14
	v_fma_f32 v21, v21, 2.0, -v31
	v_fma_f32 v7, v7, 2.0, -v19
	v_lshl_add_u32 v16, v14, 2, v17
	v_sub_f32_e32 v18, v56, v18
	v_sub_f32_e32 v4, v10, v4
	s_barrier
	ds_write2_b32 v16, v21, v7 offset1:3
	ds_write2_b32 v16, v31, v19 offset0:6 offset1:9
	v_mul_lo_u16_e32 v7, 12, v42
	v_add_f32_e32 v39, v20, v30
	v_fma_f32 v30, v56, 2.0, -v18
	v_sub_f32_e32 v8, v9, v8
	v_fma_f32 v10, v10, 2.0, -v4
	v_or_b32_e32 v7, v7, v43
	v_fma_f32 v24, v49, 2.0, -v20
	v_sub_f32_e32 v11, v53, v11
	v_fma_f32 v9, v9, 2.0, -v8
	v_sub_f32_e32 v10, v30, v10
	v_sub_f32_e32 v8, v18, v8
	v_and_b32_e32 v7, 0xff, v7
	v_sub_f32_e32 v38, v24, v32
	v_fma_f32 v32, v53, 2.0, -v11
	v_fma_f32 v30, v30, 2.0, -v10
	;; [unrolled: 1-line block ×3, first 2 shown]
	v_lshl_add_u32 v7, v7, 2, v17
	v_sub_f32_e32 v9, v32, v9
	v_sub_f32_e32 v5, v58, v5
	ds_write2_b32 v7, v30, v18 offset1:3
	ds_write2_b32 v7, v10, v8 offset0:6 offset1:9
	v_mul_lo_u16_e32 v8, 12, v47
	v_fma_f32 v41, v32, 2.0, -v9
	v_fma_f32 v32, v58, 2.0, -v5
	v_sub_f32_e32 v15, v13, v15
	v_or_b32_e32 v8, v8, v48
	v_fma_f32 v33, v57, 2.0, -v12
	v_fma_f32 v13, v13, 2.0, -v15
	v_sub_f32_e32 v6, v32, v6
	v_sub_f32_e32 v15, v5, v15
	v_and_b32_e32 v8, 0xff, v8
	v_fma_f32 v24, v24, 2.0, -v38
	v_fma_f32 v20, v20, 2.0, -v39
	v_add_f32_e32 v4, v11, v4
	v_sub_f32_e32 v13, v33, v13
	v_fma_f32 v32, v32, 2.0, -v6
	v_fma_f32 v5, v5, 2.0, -v15
	v_lshl_add_u32 v8, v8, 2, v17
	v_fma_f32 v11, v11, 2.0, -v4
	v_fma_f32 v44, v33, 2.0, -v13
	;; [unrolled: 1-line block ×3, first 2 shown]
	ds_write2_b32 v8, v32, v5 offset1:3
	ds_write2_b32 v8, v6, v15 offset0:6 offset1:9
	s_waitcnt lgkmcnt(0)
	s_barrier
	ds_read2_b32 v[14:15], v28 offset0:96 offset1:112
	ds_read2_b32 v[30:31], v28 offset0:128 offset1:144
	;; [unrolled: 1-line block ×4, first 2 shown]
	ds_read_b32 v37, v3
	ds_read_b32 v50, v22
	;; [unrolled: 1-line block ×4, first 2 shown]
	s_waitcnt lgkmcnt(0)
	s_barrier
	ds_write2_b32 v16, v24, v20 offset1:3
	ds_write2_b32 v16, v38, v39 offset0:6 offset1:9
	ds_write2_b32 v7, v41, v11 offset1:3
	ds_write2_b32 v7, v9, v4 offset0:6 offset1:9
	;; [unrolled: 2-line block ×3, first 2 shown]
	v_add_u32_e32 v4, -12, v36
	v_cndmask_b32_e64 v16, v4, v36, s[0:1]
	v_mul_i32_i24_e32 v4, 3, v16
	v_mov_b32_e32 v5, 0
	v_lshl_add_u64 v[10:11], v[4:5], 3, s[2:3]
	v_lshrrev_b16_e32 v4, 11, v40
	s_waitcnt lgkmcnt(0)
	s_barrier
	global_load_dwordx4 v[6:9], v[10:11], off offset:72
	global_load_dwordx2 v[38:39], v[10:11], off offset:88
	v_mul_lo_u16_e32 v10, 12, v4
	v_sub_u16_e32 v24, v25, v10
	v_mul_lo_u16_e32 v10, 3, v24
	v_lshlrev_b32_sdwa v18, v26, v10 dst_sel:DWORD dst_unused:UNUSED_PAD src0_sel:DWORD src1_sel:BYTE_0
	v_lshrrev_b16_e32 v53, 11, v46
	global_load_dwordx4 v[10:13], v18, s[2:3] offset:72
	global_load_dwordx2 v[40:41], v18, s[2:3] offset:88
	v_mul_lo_u16_e32 v18, 12, v53
	v_sub_u16_e32 v54, v27, v18
	v_mul_lo_u16_e32 v18, 3, v54
	v_lshlrev_b32_sdwa v26, v26, v18 dst_sel:DWORD dst_unused:UNUSED_PAD src0_sel:DWORD src1_sel:BYTE_0
	global_load_dwordx4 v[18:21], v26, s[2:3] offset:72
	global_load_dwordx2 v[42:43], v26, s[2:3] offset:88
	ds_read2_b32 v[44:45], v28 offset0:96 offset1:112
	ds_read_b32 v26, v3
	ds_read_b32 v55, v22
	ds_read2_b32 v[46:47], v28 offset0:128 offset1:144
	ds_read2_b32 v[48:49], v28 offset0:64 offset1:80
	ds_read_b32 v56, v29
	ds_read_b32 v57, v23
	v_cmp_lt_u32_e64 s[0:1], 11, v36
	v_mul_lo_u16_e32 v4, 48, v4
	v_or_b32_e32 v4, v4, v24
	v_and_b32_e32 v4, 0xff, v4
	v_lshl_add_u32 v4, v4, 2, v17
	s_waitcnt vmcnt(5) lgkmcnt(4)
	v_mul_f32_e32 v58, v55, v7
	v_fma_f32 v58, v50, v6, -v58
	v_mul_f32_e32 v50, v50, v7
	v_fmac_f32_e32 v50, v55, v6
	v_mul_f32_e32 v6, v44, v9
	v_fma_f32 v55, v14, v8, -v6
	ds_read2_b32 v[6:7], v28 offset0:160 offset1:176
	v_mul_f32_e32 v9, v14, v9
	v_fmac_f32_e32 v9, v44, v8
	s_waitcnt vmcnt(4) lgkmcnt(4)
	v_mul_f32_e32 v8, v47, v39
	v_mul_f32_e32 v14, v31, v39
	v_fma_f32 v8, v31, v38, -v8
	v_fmac_f32_e32 v14, v47, v38
	s_waitcnt vmcnt(3)
	v_mul_f32_e32 v38, v45, v13
	v_mul_f32_e32 v13, v15, v13
	s_waitcnt lgkmcnt(3)
	v_mul_f32_e32 v31, v48, v11
	v_fma_f32 v38, v15, v12, -v38
	v_mul_f32_e32 v11, v32, v11
	v_fmac_f32_e32 v13, v45, v12
	s_waitcnt vmcnt(2)
	v_mul_f32_e32 v12, v34, v41
	v_fma_f32 v31, v32, v10, -v31
	v_fmac_f32_e32 v11, v48, v10
	s_waitcnt lgkmcnt(0)
	v_mul_f32_e32 v10, v6, v41
	v_fmac_f32_e32 v12, v6, v40
	s_waitcnt vmcnt(1)
	v_mul_f32_e32 v6, v49, v19
	v_mul_f32_e32 v15, v33, v19
	v_fma_f32 v10, v34, v40, -v10
	v_fma_f32 v6, v33, v18, -v6
	v_fmac_f32_e32 v15, v49, v18
	v_mul_f32_e32 v18, v46, v21
	v_mul_f32_e32 v19, v30, v21
	s_waitcnt vmcnt(0)
	v_mul_f32_e32 v21, v35, v43
	v_sub_f32_e32 v9, v26, v9
	v_sub_f32_e32 v8, v58, v8
	v_fma_f32 v18, v30, v20, -v18
	v_fmac_f32_e32 v19, v46, v20
	v_mul_f32_e32 v20, v7, v43
	v_fmac_f32_e32 v21, v7, v42
	v_sub_f32_e32 v7, v37, v55
	v_fma_f32 v32, v58, 2.0, -v8
	v_add_f32_e32 v34, v9, v8
	v_sub_f32_e32 v8, v51, v38
	v_sub_f32_e32 v13, v56, v13
	;; [unrolled: 1-line block ×4, first 2 shown]
	v_fma_f32 v20, v35, v42, -v20
	v_fma_f32 v30, v37, 2.0, -v7
	v_fma_f32 v35, v51, 2.0, -v8
	;; [unrolled: 1-line block ×5, first 2 shown]
	v_sub_f32_e32 v31, v35, v31
	v_sub_f32_e32 v38, v37, v11
	v_fma_f32 v11, v35, 2.0, -v31
	v_fma_f32 v35, v37, 2.0, -v38
	v_add_f32_e32 v37, v13, v10
	v_sub_f32_e32 v10, v52, v18
	v_sub_f32_e32 v18, v57, v19
	;; [unrolled: 1-line block ×3, first 2 shown]
	v_add_f32_e32 v40, v18, v20
	v_sub_f32_e32 v14, v50, v14
	v_fma_f32 v39, v57, 2.0, -v18
	v_fma_f32 v41, v18, 2.0, -v40
	v_cndmask_b32_e64 v18, 0, 48, s[0:1]
	v_fma_f32 v33, v50, 2.0, -v14
	v_sub_f32_e32 v32, v30, v32
	v_sub_f32_e32 v14, v7, v14
	v_or_b32_e32 v16, v18, v16
	v_fma_f32 v30, v30, 2.0, -v32
	v_fma_f32 v7, v7, 2.0, -v14
	v_lshl_add_u32 v42, v16, 2, v17
	s_barrier
	ds_write2_b32 v42, v30, v7 offset1:12
	ds_write2_b32 v42, v32, v14 offset0:24 offset1:36
	v_mul_lo_u16_e32 v7, 48, v53
	v_fma_f32 v19, v52, 2.0, -v10
	v_sub_f32_e32 v21, v15, v21
	v_fma_f32 v6, v6, 2.0, -v20
	v_or_b32_e32 v7, v7, v54
	v_sub_f32_e32 v12, v8, v12
	v_fma_f32 v15, v15, 2.0, -v21
	v_sub_f32_e32 v6, v19, v6
	v_sub_f32_e32 v21, v10, v21
	v_and_b32_e32 v7, 0xff, v7
	v_fma_f32 v8, v8, 2.0, -v12
	v_fma_f32 v19, v19, 2.0, -v6
	;; [unrolled: 1-line block ×3, first 2 shown]
	v_lshl_add_u32 v24, v7, 2, v17
	ds_write2_b32 v4, v11, v8 offset1:12
	ds_write2_b32 v4, v31, v12 offset0:24 offset1:36
	ds_write2_b32 v24, v19, v10 offset1:12
	ds_write2_b32 v24, v6, v21 offset0:24 offset1:36
	s_waitcnt lgkmcnt(0)
	s_barrier
	ds_read2_b32 v[18:19], v28 offset0:96 offset1:112
	ds_read2_b32 v[16:17], v28 offset0:128 offset1:144
	;; [unrolled: 1-line block ×4, first 2 shown]
	ds_read_b32 v14, v3
	ds_read_b32 v20, v22
	;; [unrolled: 1-line block ×4, first 2 shown]
	v_fma_f32 v26, v26, 2.0, -v9
	v_sub_f32_e32 v33, v26, v33
	v_fma_f32 v26, v26, 2.0, -v33
	v_fma_f32 v9, v9, 2.0, -v34
	v_sub_f32_e32 v15, v39, v15
	v_fma_f32 v13, v13, 2.0, -v37
	v_fma_f32 v39, v39, 2.0, -v15
	s_waitcnt lgkmcnt(0)
	s_barrier
	ds_write2_b32 v42, v26, v9 offset1:12
	ds_write2_b32 v42, v33, v34 offset0:24 offset1:36
	ds_write2_b32 v4, v35, v13 offset1:12
	ds_write2_b32 v4, v38, v37 offset0:24 offset1:36
	;; [unrolled: 2-line block ×3, first 2 shown]
	s_waitcnt lgkmcnt(0)
	s_barrier
	s_and_saveexec_b64 s[0:1], vcc
	s_cbranch_execz .LBB0_10
; %bb.9:
	v_mul_u32_u24_e32 v4, 3, v36
	v_lshlrev_b32_e32 v4, 3, v4
	global_load_dwordx2 v[38:39], v4, s[2:3] offset:376
	global_load_dwordx4 v[30:33], v4, s[2:3] offset:360
	v_mul_i32_i24_e32 v4, 3, v27
	v_lshl_add_u64 v[40:41], v[4:5], 3, s[2:3]
	v_mul_i32_i24_e32 v4, 3, v25
	global_load_dwordx4 v[34:37], v[40:41], off offset:360
	v_lshl_add_u64 v[42:43], v[4:5], 3, s[2:3]
	global_load_dwordx4 v[24:27], v[42:43], off offset:360
	global_load_dwordx2 v[44:45], v[42:43], off offset:376
	global_load_dwordx2 v[46:47], v[40:41], off offset:376
	ds_read2_b32 v[40:41], v28 offset0:128 offset1:144
	ds_read2_b32 v[42:43], v28 offset0:64 offset1:80
	;; [unrolled: 1-line block ×4, first 2 shown]
	ds_read_b32 v15, v3
	ds_read_b32 v9, v23
	;; [unrolled: 1-line block ×4, first 2 shown]
	v_mov_b32_e32 v3, v5
	v_lshl_add_u64 v[0:1], v[0:1], 0, v[2:3]
	s_waitcnt lgkmcnt(7)
	v_mov_b32_e32 v2, v41
	v_mov_b32_e32 v22, v17
	;; [unrolled: 1-line block ×5, first 2 shown]
	s_waitcnt lgkmcnt(4)
	v_mov_b32_e32 v56, v51
	v_mov_b32_e32 v58, v43
	s_waitcnt vmcnt(5)
	v_pk_mul_f32 v[2:3], v[38:39], v[2:3] op_sel_hi:[1,0]
	s_nop 0
	v_pk_fma_f32 v[22:23], v[22:23], v[38:39], v[2:3] op_sel:[0,0,1] op_sel_hi:[1,1,0] neg_lo:[0,0,1] neg_hi:[0,0,1]
	v_pk_fma_f32 v[2:3], v[28:29], v[38:39], v[2:3] op_sel:[0,0,1] op_sel_hi:[0,1,0]
	s_waitcnt vmcnt(4)
	v_mov_b32_e32 v28, v33
	v_mov_b32_e32 v29, v32
	s_waitcnt lgkmcnt(0)
	v_pk_mul_f32 v[4:5], v[30:31], v[4:5] op_sel_hi:[1,0]
	v_pk_mul_f32 v[28:29], v[50:51], v[28:29] op_sel_hi:[0,1]
	v_pk_fma_f32 v[50:51], v[20:21], v[30:31], v[4:5] op_sel:[0,0,1] op_sel_hi:[1,1,0] neg_lo:[0,0,1] neg_hi:[0,0,1]
	v_pk_fma_f32 v[4:5], v[20:21], v[30:31], v[4:5] op_sel:[0,0,1] op_sel_hi:[0,1,0]
	v_pk_fma_f32 v[20:21], v[18:19], v[32:33], v[28:29] neg_lo:[0,0,1] neg_hi:[0,0,1]
	v_pk_fma_f32 v[18:19], v[18:19], v[32:33], v[28:29] op_sel_hi:[0,1,1]
	s_waitcnt vmcnt(2)
	v_mov_b32_e32 v28, v27
	v_mov_b32_e32 v29, v26
	;; [unrolled: 1-line block ×4, first 2 shown]
	v_pk_mul_f32 v[30:31], v[24:25], v[42:43] op_sel_hi:[1,0]
	s_waitcnt vmcnt(1)
	v_pk_mul_f32 v[32:33], v[44:45], v[48:49] op_sel_hi:[1,0]
	v_mov_b32_e32 v51, v5
	v_mov_b32_e32 v23, v3
	v_pk_mul_f32 v[2:3], v[56:57], v[28:29] op_sel_hi:[0,1]
	v_pk_mul_f32 v[38:39], v[40:41], v[38:39] op_sel_hi:[0,1]
	v_pk_fma_f32 v[4:5], v[10:11], v[24:25], v[30:31] op_sel:[0,0,1] op_sel_hi:[1,1,0] neg_lo:[0,0,1] neg_hi:[0,0,1]
	v_pk_fma_f32 v[24:25], v[10:11], v[24:25], v[30:31] op_sel:[0,0,1] op_sel_hi:[0,1,0]
	v_pk_fma_f32 v[28:29], v[6:7], v[44:45], v[32:33] op_sel:[0,0,1] op_sel_hi:[1,1,0] neg_lo:[0,0,1] neg_hi:[0,0,1]
	v_pk_fma_f32 v[30:31], v[6:7], v[44:45], v[32:33] op_sel:[0,0,1] op_sel_hi:[0,1,0]
	v_mov_b32_e32 v21, v19
	v_pk_add_f32 v[18:19], v[50:51], v[22:23] neg_lo:[0,1] neg_hi:[0,1]
	v_pk_fma_f32 v[22:23], v[52:53], v[26:27], v[2:3] neg_lo:[0,0,1] neg_hi:[0,0,1]
	v_pk_fma_f32 v[2:3], v[54:55], v[26:27], v[2:3] op_sel_hi:[0,1,1]
	v_pk_fma_f32 v[32:33], v[16:17], v[36:37], v[38:39] neg_lo:[0,0,1] neg_hi:[0,0,1]
	v_pk_fma_f32 v[16:17], v[16:17], v[36:37], v[38:39] op_sel_hi:[0,1,1]
	v_mov_b32_e32 v5, v25
	v_mov_b32_e32 v29, v31
	;; [unrolled: 1-line block ×4, first 2 shown]
	v_pk_add_f32 v[16:17], v[14:15], v[20:21] neg_lo:[0,1] neg_hi:[0,1]
	v_pk_add_f32 v[2:3], v[4:5], v[28:29] neg_lo:[0,1] neg_hi:[0,1]
	;; [unrolled: 1-line block ×3, first 2 shown]
	v_pk_fma_f32 v[20:21], v[50:51], 2.0, v[18:19] op_sel_hi:[1,0,1] neg_lo:[0,0,1] neg_hi:[0,0,1]
	v_pk_fma_f32 v[14:15], v[14:15], 2.0, v[16:17] op_sel_hi:[1,0,1] neg_lo:[0,0,1] neg_hi:[0,0,1]
	v_pk_add_f32 v[26:27], v[16:17], v[18:19] op_sel:[0,1] op_sel_hi:[1,0] neg_lo:[0,1] neg_hi:[0,1]
	v_pk_add_f32 v[18:19], v[16:17], v[18:19] op_sel:[0,1] op_sel_hi:[1,0]
	v_pk_fma_f32 v[4:5], v[4:5], 2.0, v[2:3] op_sel_hi:[1,0,1] neg_lo:[0,0,1] neg_hi:[0,0,1]
	v_pk_fma_f32 v[12:13], v[12:13], 2.0, v[22:23] op_sel_hi:[1,0,1] neg_lo:[0,0,1] neg_hi:[0,0,1]
	v_pk_add_f32 v[20:21], v[14:15], v[20:21] neg_lo:[0,1] neg_hi:[0,1]
	v_mov_b32_e32 v27, v19
	v_pk_add_f32 v[18:19], v[22:23], v[2:3] op_sel:[0,1] op_sel_hi:[1,0] neg_lo:[0,1] neg_hi:[0,1]
	v_pk_add_f32 v[2:3], v[22:23], v[2:3] op_sel:[0,1] op_sel_hi:[1,0]
	v_pk_add_f32 v[4:5], v[12:13], v[4:5] neg_lo:[0,1] neg_hi:[0,1]
	v_pk_fma_f32 v[14:15], v[14:15], 2.0, v[20:21] op_sel_hi:[1,0,1] neg_lo:[0,0,1] neg_hi:[0,0,1]
	v_mov_b32_e32 v19, v3
	v_pk_fma_f32 v[2:3], v[12:13], 2.0, v[4:5] op_sel_hi:[1,0,1] neg_lo:[0,0,1] neg_hi:[0,0,1]
	v_pk_fma_f32 v[16:17], v[16:17], 2.0, v[26:27] op_sel_hi:[1,0,1] neg_lo:[0,0,1] neg_hi:[0,0,1]
	global_store_dwordx2 v[0:1], v[20:21], off offset:768
	global_store_dwordx2 v[0:1], v[26:27], off offset:1152
	global_store_dwordx2 v[0:1], v[14:15], off
	global_store_dwordx2 v[0:1], v[16:17], off offset:384
	v_pk_fma_f32 v[12:13], v[22:23], 2.0, v[18:19] op_sel_hi:[1,0,1] neg_lo:[0,0,1] neg_hi:[0,0,1]
	global_store_dwordx2 v[0:1], v[4:5], off offset:896
	global_store_dwordx2 v[0:1], v[18:19], off offset:1280
	;; [unrolled: 1-line block ×4, first 2 shown]
	v_pk_mul_f32 v[2:3], v[34:35], v[58:59] op_sel_hi:[1,0]
	v_mov_b32_e32 v4, v11
	v_mov_b32_e32 v6, v11
	v_pk_fma_f32 v[4:5], v[4:5], v[34:35], v[2:3] op_sel:[0,0,1] op_sel_hi:[1,1,0] neg_lo:[0,0,1] neg_hi:[0,0,1]
	v_pk_fma_f32 v[2:3], v[6:7], v[34:35], v[2:3] op_sel:[0,0,1] op_sel_hi:[0,1,0]
	v_mov_b32_e32 v2, v49
	v_mov_b32_e32 v5, v3
	s_waitcnt vmcnt(8)
	v_pk_mul_f32 v[2:3], v[46:47], v[2:3] op_sel_hi:[1,0]
	v_mov_b32_e32 v6, v7
	v_mov_b32_e32 v10, v7
	v_pk_fma_f32 v[6:7], v[6:7], v[46:47], v[2:3] op_sel:[0,0,1] op_sel_hi:[1,1,0] neg_lo:[0,0,1] neg_hi:[0,0,1]
	v_pk_fma_f32 v[2:3], v[10:11], v[46:47], v[2:3] op_sel:[0,0,1] op_sel_hi:[0,1,0]
	v_mov_b32_e32 v7, v3
	v_pk_add_f32 v[24:25], v[8:9], v[32:33] neg_lo:[0,1] neg_hi:[0,1]
	v_pk_add_f32 v[2:3], v[4:5], v[6:7] neg_lo:[0,1] neg_hi:[0,1]
	v_pk_fma_f32 v[6:7], v[8:9], 2.0, v[24:25] op_sel_hi:[1,0,1] neg_lo:[0,0,1] neg_hi:[0,0,1]
	v_pk_fma_f32 v[4:5], v[4:5], 2.0, v[2:3] op_sel_hi:[1,0,1] neg_lo:[0,0,1] neg_hi:[0,0,1]
	s_nop 0
	v_pk_add_f32 v[4:5], v[6:7], v[4:5] neg_lo:[0,1] neg_hi:[0,1]
	s_nop 0
	v_pk_fma_f32 v[6:7], v[6:7], 2.0, v[4:5] op_sel_hi:[1,0,1] neg_lo:[0,0,1] neg_hi:[0,0,1]
	global_store_dwordx2 v[0:1], v[6:7], off offset:256
	v_pk_add_f32 v[6:7], v[24:25], v[2:3] op_sel:[0,1] op_sel_hi:[1,0] neg_lo:[0,1] neg_hi:[0,1]
	v_pk_add_f32 v[2:3], v[24:25], v[2:3] op_sel:[0,1] op_sel_hi:[1,0]
	s_nop 0
	v_mov_b32_e32 v7, v3
	v_pk_fma_f32 v[2:3], v[24:25], 2.0, v[6:7] op_sel_hi:[1,0,1] neg_lo:[0,0,1] neg_hi:[0,0,1]
	global_store_dwordx2 v[0:1], v[2:3], off offset:640
	global_store_dwordx2 v[0:1], v[4:5], off offset:1024
	;; [unrolled: 1-line block ×3, first 2 shown]
.LBB0_10:
	s_endpgm
	.section	.rodata,"a",@progbits
	.p2align	6, 0x0
	.amdhsa_kernel fft_rtc_fwd_len192_factors_3_4_4_4_wgs_256_tpt_16_halfLds_dim3_sp_ip_CI_unitstride_sbrr_dirReg
		.amdhsa_group_segment_fixed_size 0
		.amdhsa_private_segment_fixed_size 0
		.amdhsa_kernarg_size 80
		.amdhsa_user_sgpr_count 2
		.amdhsa_user_sgpr_dispatch_ptr 0
		.amdhsa_user_sgpr_queue_ptr 0
		.amdhsa_user_sgpr_kernarg_segment_ptr 1
		.amdhsa_user_sgpr_dispatch_id 0
		.amdhsa_user_sgpr_kernarg_preload_length 0
		.amdhsa_user_sgpr_kernarg_preload_offset 0
		.amdhsa_user_sgpr_private_segment_size 0
		.amdhsa_uses_dynamic_stack 0
		.amdhsa_enable_private_segment 0
		.amdhsa_system_sgpr_workgroup_id_x 1
		.amdhsa_system_sgpr_workgroup_id_y 0
		.amdhsa_system_sgpr_workgroup_id_z 0
		.amdhsa_system_sgpr_workgroup_info 0
		.amdhsa_system_vgpr_workitem_id 0
		.amdhsa_next_free_vgpr 60
		.amdhsa_next_free_sgpr 14
		.amdhsa_accum_offset 60
		.amdhsa_reserve_vcc 1
		.amdhsa_float_round_mode_32 0
		.amdhsa_float_round_mode_16_64 0
		.amdhsa_float_denorm_mode_32 3
		.amdhsa_float_denorm_mode_16_64 3
		.amdhsa_dx10_clamp 1
		.amdhsa_ieee_mode 1
		.amdhsa_fp16_overflow 0
		.amdhsa_tg_split 0
		.amdhsa_exception_fp_ieee_invalid_op 0
		.amdhsa_exception_fp_denorm_src 0
		.amdhsa_exception_fp_ieee_div_zero 0
		.amdhsa_exception_fp_ieee_overflow 0
		.amdhsa_exception_fp_ieee_underflow 0
		.amdhsa_exception_fp_ieee_inexact 0
		.amdhsa_exception_int_div_zero 0
	.end_amdhsa_kernel
	.text
.Lfunc_end0:
	.size	fft_rtc_fwd_len192_factors_3_4_4_4_wgs_256_tpt_16_halfLds_dim3_sp_ip_CI_unitstride_sbrr_dirReg, .Lfunc_end0-fft_rtc_fwd_len192_factors_3_4_4_4_wgs_256_tpt_16_halfLds_dim3_sp_ip_CI_unitstride_sbrr_dirReg
                                        ; -- End function
	.section	.AMDGPU.csdata,"",@progbits
; Kernel info:
; codeLenInByte = 4424
; NumSgprs: 20
; NumVgprs: 60
; NumAgprs: 0
; TotalNumVgprs: 60
; ScratchSize: 0
; MemoryBound: 0
; FloatMode: 240
; IeeeMode: 1
; LDSByteSize: 0 bytes/workgroup (compile time only)
; SGPRBlocks: 2
; VGPRBlocks: 7
; NumSGPRsForWavesPerEU: 20
; NumVGPRsForWavesPerEU: 60
; AccumOffset: 60
; Occupancy: 8
; WaveLimiterHint : 1
; COMPUTE_PGM_RSRC2:SCRATCH_EN: 0
; COMPUTE_PGM_RSRC2:USER_SGPR: 2
; COMPUTE_PGM_RSRC2:TRAP_HANDLER: 0
; COMPUTE_PGM_RSRC2:TGID_X_EN: 1
; COMPUTE_PGM_RSRC2:TGID_Y_EN: 0
; COMPUTE_PGM_RSRC2:TGID_Z_EN: 0
; COMPUTE_PGM_RSRC2:TIDIG_COMP_CNT: 0
; COMPUTE_PGM_RSRC3_GFX90A:ACCUM_OFFSET: 14
; COMPUTE_PGM_RSRC3_GFX90A:TG_SPLIT: 0
	.text
	.p2alignl 6, 3212836864
	.fill 256, 4, 3212836864
	.type	__hip_cuid_879da9b5d39b432a,@object ; @__hip_cuid_879da9b5d39b432a
	.section	.bss,"aw",@nobits
	.globl	__hip_cuid_879da9b5d39b432a
__hip_cuid_879da9b5d39b432a:
	.byte	0                               ; 0x0
	.size	__hip_cuid_879da9b5d39b432a, 1

	.ident	"AMD clang version 19.0.0git (https://github.com/RadeonOpenCompute/llvm-project roc-6.4.0 25133 c7fe45cf4b819c5991fe208aaa96edf142730f1d)"
	.section	".note.GNU-stack","",@progbits
	.addrsig
	.addrsig_sym __hip_cuid_879da9b5d39b432a
	.amdgpu_metadata
---
amdhsa.kernels:
  - .agpr_count:     0
    .args:
      - .actual_access:  read_only
        .address_space:  global
        .offset:         0
        .size:           8
        .value_kind:     global_buffer
      - .actual_access:  read_only
        .address_space:  global
        .offset:         8
        .size:           8
        .value_kind:     global_buffer
      - .actual_access:  read_only
        .address_space:  global
        .offset:         16
        .size:           8
        .value_kind:     global_buffer
      - .offset:         24
        .size:           8
        .value_kind:     by_value
      - .actual_access:  read_only
        .address_space:  global
        .offset:         32
        .size:           8
        .value_kind:     global_buffer
      - .actual_access:  read_only
        .address_space:  global
        .offset:         40
        .size:           8
        .value_kind:     global_buffer
      - .offset:         48
        .size:           4
        .value_kind:     by_value
      - .actual_access:  read_only
        .address_space:  global
        .offset:         56
        .size:           8
        .value_kind:     global_buffer
      - .actual_access:  read_only
        .address_space:  global
        .offset:         64
        .size:           8
        .value_kind:     global_buffer
      - .address_space:  global
        .offset:         72
        .size:           8
        .value_kind:     global_buffer
    .group_segment_fixed_size: 0
    .kernarg_segment_align: 8
    .kernarg_segment_size: 80
    .language:       OpenCL C
    .language_version:
      - 2
      - 0
    .max_flat_workgroup_size: 256
    .name:           fft_rtc_fwd_len192_factors_3_4_4_4_wgs_256_tpt_16_halfLds_dim3_sp_ip_CI_unitstride_sbrr_dirReg
    .private_segment_fixed_size: 0
    .sgpr_count:     20
    .sgpr_spill_count: 0
    .symbol:         fft_rtc_fwd_len192_factors_3_4_4_4_wgs_256_tpt_16_halfLds_dim3_sp_ip_CI_unitstride_sbrr_dirReg.kd
    .uniform_work_group_size: 1
    .uses_dynamic_stack: false
    .vgpr_count:     60
    .vgpr_spill_count: 0
    .wavefront_size: 64
amdhsa.target:   amdgcn-amd-amdhsa--gfx950
amdhsa.version:
  - 1
  - 2
...

	.end_amdgpu_metadata
